;; amdgpu-corpus repo=ROCm/rocFFT kind=compiled arch=gfx906 opt=O3
	.text
	.amdgcn_target "amdgcn-amd-amdhsa--gfx906"
	.amdhsa_code_object_version 6
	.protected	bluestein_single_fwd_len120_dim1_sp_op_CI_CI ; -- Begin function bluestein_single_fwd_len120_dim1_sp_op_CI_CI
	.globl	bluestein_single_fwd_len120_dim1_sp_op_CI_CI
	.p2align	8
	.type	bluestein_single_fwd_len120_dim1_sp_op_CI_CI,@function
bluestein_single_fwd_len120_dim1_sp_op_CI_CI: ; @bluestein_single_fwd_len120_dim1_sp_op_CI_CI
; %bb.0:
	v_mul_u32_u24_e32 v1, 0x1556, v0
	s_load_dwordx4 s[8:11], s[4:5], 0x28
	v_lshrrev_b32_e32 v1, 16, v1
	v_mad_u64_u32 v[42:43], s[0:1], s6, 5, v[1:2]
	v_mov_b32_e32 v24, 0
	v_mov_b32_e32 v43, v24
	s_waitcnt lgkmcnt(0)
	v_cmp_gt_u64_e32 vcc, s[8:9], v[42:43]
	s_and_saveexec_b64 s[0:1], vcc
	s_cbranch_execz .LBB0_15
; %bb.1:
	s_load_dwordx4 s[0:3], s[4:5], 0x18
	v_mul_lo_u16_e32 v1, 12, v1
	v_sub_u16_e32 v69, v0, v1
	v_or_b32_e32 v72, 0x50, v69
	v_lshlrev_b32_e32 v20, 3, v69
	s_waitcnt lgkmcnt(0)
	s_load_dwordx4 s[12:15], s[0:1], 0x0
	v_or_b32_e32 v71, 32, v69
	s_waitcnt lgkmcnt(0)
	v_mad_u64_u32 v[4:5], s[0:1], s12, v69, 0
	v_mad_u64_u32 v[0:1], s[0:1], s14, v42, 0
	v_mov_b32_e32 v2, v5
	v_mad_u64_u32 v[5:6], s[0:1], s15, v42, v[1:2]
	v_mad_u64_u32 v[2:3], s[0:1], s13, v69, v[2:3]
	v_mov_b32_e32 v1, v5
	v_lshlrev_b64 v[0:1], 3, v[0:1]
	v_mov_b32_e32 v3, s11
	v_mov_b32_e32 v5, v2
	v_add_co_u32_e32 v2, vcc, s10, v0
	v_addc_co_u32_e32 v3, vcc, v3, v1, vcc
	v_lshlrev_b64 v[0:1], 3, v[4:5]
	s_mul_i32 s0, s13, 0xa0
	v_add_co_u32_e32 v0, vcc, v2, v0
	s_mul_hi_u32 s1, s12, 0xa0
	v_addc_co_u32_e32 v1, vcc, v3, v1, vcc
	s_add_i32 s0, s1, s0
	s_mul_i32 s1, s12, 0xa0
	v_mov_b32_e32 v5, s0
	v_add_co_u32_e32 v4, vcc, s1, v0
	v_addc_co_u32_e32 v5, vcc, v1, v5, vcc
	v_mov_b32_e32 v7, s0
	v_add_co_u32_e32 v6, vcc, s1, v4
	v_addc_co_u32_e32 v7, vcc, v5, v7, vcc
	v_mov_b32_e32 v9, s0
	v_add_co_u32_e32 v8, vcc, s1, v6
	v_mad_u64_u32 v[10:11], s[0:1], s12, v72, 0
	v_addc_co_u32_e32 v9, vcc, v7, v9, vcc
	global_load_dwordx2 v[12:13], v[0:1], off
	global_load_dwordx2 v[14:15], v[4:5], off
	;; [unrolled: 1-line block ×4, first 2 shown]
	v_mov_b32_e32 v0, v11
	v_mad_u64_u32 v[0:1], s[0:1], s13, v72, v[0:1]
	s_load_dwordx2 s[14:15], s[4:5], 0x0
	s_waitcnt lgkmcnt(0)
	global_load_dwordx2 v[53:54], v20, s[14:15]
	global_load_dwordx2 v[51:52], v20, s[14:15] offset:160
	global_load_dwordx2 v[49:50], v20, s[14:15] offset:320
	;; [unrolled: 1-line block ×3, first 2 shown]
	v_mov_b32_e32 v11, v0
	v_lshlrev_b64 v[0:1], 3, v[10:11]
	s_mul_i32 s0, s13, 40
	v_add_co_u32_e32 v0, vcc, v2, v0
	s_mul_hi_u32 s1, s12, 40
	v_addc_co_u32_e32 v1, vcc, v3, v1, vcc
	s_add_i32 s1, s1, s0
	s_mul_i32 s0, s12, 40
	global_load_dwordx2 v[4:5], v[0:1], off
	global_load_dwordx2 v[45:46], v20, s[14:15] offset:640
	s_lshl_b64 s[16:17], s[0:1], 3
	v_mov_b32_e32 v1, s17
	v_add_co_u32_e32 v0, vcc, s16, v8
	v_addc_co_u32_e32 v1, vcc, v9, v1, vcc
	global_load_dwordx2 v[43:44], v20, s[14:15] offset:800
	global_load_dwordx2 v[6:7], v[0:1], off
	s_mov_b32 s0, 0xcccccccd
	v_mul_hi_u32 v8, v42, s0
	v_mov_b32_e32 v9, s15
	v_add_co_u32_e32 v40, vcc, s14, v20
	v_lshrrev_b32_e32 v8, 2, v8
	v_lshl_add_u32 v8, v8, 2, v8
	v_sub_u32_e32 v8, v42, v8
	v_mul_u32_u24_e32 v8, 0x78, v8
	v_addc_co_u32_e32 v41, vcc, 0, v9, vcc
	v_lshlrev_b32_e32 v73, 3, v8
	v_add_u32_e32 v70, v20, v73
	s_load_dwordx2 s[6:7], s[4:5], 0x38
	s_load_dwordx4 s[8:11], s[2:3], 0x0
	v_cmp_gt_u16_e32 vcc, 8, v69
	s_waitcnt vmcnt(7)
	v_mul_f32_e32 v8, v13, v54
	v_mul_f32_e32 v9, v12, v54
	s_waitcnt vmcnt(6)
	v_mul_f32_e32 v10, v15, v52
	v_mul_f32_e32 v11, v14, v52
	v_fmac_f32_e32 v8, v12, v53
	v_fma_f32 v9, v13, v53, -v9
	v_fmac_f32_e32 v10, v14, v51
	v_fma_f32 v11, v15, v51, -v11
	ds_write2_b64 v70, v[8:9], v[10:11] offset1:20
	s_waitcnt vmcnt(5)
	v_mul_f32_e32 v8, v16, v50
	v_mul_f32_e32 v12, v17, v50
	v_fma_f32 v13, v17, v49, -v8
	s_waitcnt vmcnt(4)
	v_mul_f32_e32 v8, v19, v48
	v_mul_f32_e32 v9, v18, v48
	v_fmac_f32_e32 v12, v16, v49
	v_fmac_f32_e32 v8, v18, v47
	v_fma_f32 v9, v19, v47, -v9
	ds_write2_b64 v70, v[12:13], v[8:9] offset0:40 offset1:60
	s_waitcnt vmcnt(2)
	v_mul_f32_e32 v8, v5, v46
	v_fmac_f32_e32 v8, v4, v45
	v_mul_f32_e32 v4, v4, v46
	v_fma_f32 v9, v5, v45, -v4
	s_waitcnt vmcnt(0)
	v_mul_f32_e32 v4, v7, v44
	v_mul_f32_e32 v5, v6, v44
	v_fmac_f32_e32 v4, v6, v43
	v_fma_f32 v5, v7, v43, -v5
	ds_write2_b64 v70, v[8:9], v[4:5] offset0:80 offset1:100
	s_and_saveexec_b64 s[2:3], vcc
	s_cbranch_execz .LBB0_3
; %bb.2:
	v_mad_u64_u32 v[4:5], s[0:1], s12, v71, 0
	v_mov_b32_e32 v6, 0xfffffd40
	v_mad_u64_u32 v[0:1], s[0:1], s12, v6, v[0:1]
	v_mad_u64_u32 v[5:6], s[0:1], s13, v71, v[5:6]
	s_mul_i32 s18, s13, 0xfffffd40
	s_sub_i32 s0, s18, s12
	v_or_b32_e32 v10, 0x48, v69
	v_add_u32_e32 v1, s0, v1
	v_mad_u64_u32 v[8:9], s[0:1], s12, v10, 0
	v_lshlrev_b64 v[4:5], 3, v[4:5]
	global_load_dwordx2 v[6:7], v[0:1], off
	v_add_co_u32_e64 v4, s[0:1], v2, v4
	v_addc_co_u32_e64 v5, s[0:1], v3, v5, s[0:1]
	v_mad_u64_u32 v[9:10], s[0:1], s13, v10, v[9:10]
	v_mov_b32_e32 v12, s17
	v_add_co_u32_e64 v0, s[0:1], s16, v0
	v_lshlrev_b64 v[8:9], 3, v[8:9]
	v_addc_co_u32_e64 v1, s[0:1], v1, v12, s[0:1]
	v_add_co_u32_e64 v8, s[0:1], v2, v8
	v_addc_co_u32_e64 v9, s[0:1], v3, v9, s[0:1]
	global_load_dwordx2 v[10:11], v[0:1], off
	v_add_co_u32_e64 v0, s[0:1], s16, v0
	v_or_b32_e32 v22, 0x70, v69
	v_addc_co_u32_e64 v1, s[0:1], v1, v12, s[0:1]
	v_mad_u64_u32 v[14:15], s[0:1], s12, v22, 0
	global_load_dwordx2 v[4:5], v[4:5], off
	s_nop 0
	global_load_dwordx2 v[12:13], v[40:41], off offset:96
	global_load_dwordx2 v[16:17], v[0:1], off
	global_load_dwordx2 v[18:19], v[40:41], off offset:256
	global_load_dwordx2 v[20:21], v[40:41], off offset:416
	v_mov_b32_e32 v0, v15
	v_mad_u64_u32 v[0:1], s[0:1], s13, v22, v[0:1]
	global_load_dwordx2 v[22:23], v[40:41], off offset:736
	global_load_dwordx2 v[25:26], v[8:9], off
	global_load_dwordx2 v[27:28], v[40:41], off offset:576
	v_mov_b32_e32 v15, v0
	v_lshlrev_b64 v[0:1], 3, v[14:15]
	v_add_co_u32_e64 v0, s[0:1], v2, v0
	v_addc_co_u32_e64 v1, s[0:1], v3, v1, s[0:1]
	global_load_dwordx2 v[2:3], v[40:41], off offset:896
	global_load_dwordx2 v[8:9], v[0:1], off
	s_waitcnt vmcnt(8)
	v_mul_f32_e32 v0, v7, v13
	v_mul_f32_e32 v1, v6, v13
	v_fmac_f32_e32 v0, v6, v12
	v_fma_f32 v1, v7, v12, -v1
	s_waitcnt vmcnt(6)
	v_mul_f32_e32 v12, v5, v19
	v_mul_f32_e32 v13, v4, v19
	s_waitcnt vmcnt(5)
	v_mul_f32_e32 v6, v11, v21
	v_mul_f32_e32 v7, v10, v21
	v_fmac_f32_e32 v12, v4, v18
	v_fma_f32 v13, v5, v18, -v13
	s_waitcnt vmcnt(2)
	v_mul_f32_e32 v4, v26, v28
	v_mul_f32_e32 v5, v25, v28
	v_fmac_f32_e32 v6, v10, v20
	v_fma_f32 v7, v11, v20, -v7
	v_mul_f32_e32 v10, v17, v23
	v_mul_f32_e32 v11, v16, v23
	s_waitcnt vmcnt(0)
	v_mul_f32_e32 v14, v9, v3
	v_mul_f32_e32 v3, v8, v3
	v_fmac_f32_e32 v4, v25, v27
	v_fma_f32 v5, v26, v27, -v5
	v_fmac_f32_e32 v10, v16, v22
	v_fma_f32 v11, v17, v22, -v11
	ds_write2_b64 v70, v[0:1], v[12:13] offset0:12 offset1:32
	v_fmac_f32_e32 v14, v8, v2
	v_fma_f32 v15, v9, v2, -v3
	ds_write2_b64 v70, v[6:7], v[4:5] offset0:52 offset1:72
	ds_write2_b64 v70, v[10:11], v[14:15] offset0:92 offset1:112
.LBB0_3:
	s_or_b64 exec, exec, s[2:3]
	s_waitcnt lgkmcnt(0)
	; wave barrier
	s_waitcnt lgkmcnt(0)
	ds_read2_b64 v[4:7], v70 offset1:20
	ds_read2_b64 v[16:19], v70 offset0:40 offset1:60
	ds_read2_b64 v[20:23], v70 offset0:80 offset1:100
	s_load_dwordx2 s[2:3], s[4:5], 0x8
                                        ; implicit-def: $vgpr2
                                        ; implicit-def: $vgpr10
                                        ; implicit-def: $vgpr12
	s_and_saveexec_b64 s[0:1], vcc
	s_cbranch_execz .LBB0_5
; %bb.4:
	ds_read2_b64 v[0:3], v70 offset0:12 offset1:32
	ds_read2_b64 v[8:11], v70 offset0:52 offset1:72
	;; [unrolled: 1-line block ×3, first 2 shown]
.LBB0_5:
	s_or_b64 exec, exec, s[0:1]
	s_waitcnt lgkmcnt(0)
	v_add_f32_e32 v25, v4, v16
	v_add_f32_e32 v31, v25, v20
	;; [unrolled: 1-line block ×3, first 2 shown]
	v_fma_f32 v4, -0.5, v25, v4
	v_sub_f32_e32 v25, v17, v21
	v_mov_b32_e32 v32, v4
	v_fmac_f32_e32 v32, 0x3f5db3d7, v25
	v_fmac_f32_e32 v4, 0xbf5db3d7, v25
	v_add_f32_e32 v25, v5, v17
	v_add_f32_e32 v17, v17, v21
	v_fma_f32 v5, -0.5, v17, v5
	v_sub_f32_e32 v16, v16, v20
	v_mov_b32_e32 v17, v5
	v_add_f32_e32 v20, v18, v22
	v_fmac_f32_e32 v17, 0xbf5db3d7, v16
	v_fmac_f32_e32 v5, 0x3f5db3d7, v16
	v_add_f32_e32 v16, v6, v18
	v_fma_f32 v6, -0.5, v20, v6
	v_add_f32_e32 v34, v25, v21
	v_sub_f32_e32 v20, v19, v23
	v_mov_b32_e32 v21, v6
	v_fmac_f32_e32 v21, 0x3f5db3d7, v20
	v_fmac_f32_e32 v6, 0xbf5db3d7, v20
	v_add_f32_e32 v20, v7, v19
	v_add_f32_e32 v19, v19, v23
	v_fmac_f32_e32 v7, -0.5, v19
	v_sub_f32_e32 v18, v18, v22
	v_mov_b32_e32 v19, v7
	v_add_f32_e32 v16, v16, v22
	v_fmac_f32_e32 v19, 0xbf5db3d7, v18
	v_fmac_f32_e32 v7, 0x3f5db3d7, v18
	v_mul_f32_e32 v22, -0.5, v6
	v_mul_f32_e32 v18, 0x3f5db3d7, v19
	v_fmac_f32_e32 v22, 0x3f5db3d7, v7
	v_fmac_f32_e32 v18, 0.5, v21
	v_add_f32_e32 v29, v4, v22
	v_mul_f32_e32 v21, 0xbf5db3d7, v21
	v_sub_f32_e32 v35, v4, v22
	v_add_f32_e32 v4, v12, v8
	v_add_f32_e32 v20, v20, v23
	;; [unrolled: 1-line block ×3, first 2 shown]
	v_fmac_f32_e32 v21, 0.5, v19
	v_sub_f32_e32 v31, v31, v16
	v_fma_f32 v16, -0.5, v4, v0
	v_add_f32_e32 v27, v32, v18
	v_add_f32_e32 v26, v34, v20
	;; [unrolled: 1-line block ×3, first 2 shown]
	v_sub_f32_e32 v33, v32, v18
	v_sub_f32_e32 v32, v34, v20
	;; [unrolled: 1-line block ×4, first 2 shown]
	v_mov_b32_e32 v17, v16
	v_fmac_f32_e32 v17, 0x3f5db3d7, v4
	v_fmac_f32_e32 v16, 0xbf5db3d7, v4
	v_add_f32_e32 v4, v13, v9
	v_fma_f32 v18, -0.5, v4, v1
	v_sub_f32_e32 v4, v8, v12
	v_mov_b32_e32 v19, v18
	v_mul_f32_e32 v7, -0.5, v7
	v_fmac_f32_e32 v19, 0xbf5db3d7, v4
	v_fmac_f32_e32 v18, 0x3f5db3d7, v4
	v_add_f32_e32 v4, v10, v14
	v_fmac_f32_e32 v7, 0xbf5db3d7, v6
	v_fma_f32 v4, -0.5, v4, v2
	v_add_f32_e32 v30, v5, v7
	v_sub_f32_e32 v36, v5, v7
	v_sub_f32_e32 v5, v11, v15
	v_mov_b32_e32 v6, v4
	v_fmac_f32_e32 v6, 0x3f5db3d7, v5
	v_fmac_f32_e32 v4, 0xbf5db3d7, v5
	v_add_f32_e32 v5, v11, v15
	v_fma_f32 v5, -0.5, v5, v3
	v_sub_f32_e32 v7, v10, v14
	v_mov_b32_e32 v23, v5
	v_fmac_f32_e32 v23, 0xbf5db3d7, v7
	v_fmac_f32_e32 v5, 0x3f5db3d7, v7
	v_mul_f32_e32 v22, 0xbf5db3d7, v6
	v_mul_f32_e32 v20, 0x3f5db3d7, v23
	v_mul_f32_e32 v21, -0.5, v4
	v_fmac_f32_e32 v22, 0.5, v23
	v_mul_f32_e32 v23, -0.5, v5
	v_add_co_u32_e64 v37, s[0:1], 12, v69
	v_fmac_f32_e32 v20, 0.5, v6
	v_fmac_f32_e32 v21, 0x3f5db3d7, v5
	v_fmac_f32_e32 v23, 0xbf5db3d7, v4
	v_mul_lo_u16_e32 v38, 6, v69
	v_sub_f32_e32 v4, v17, v20
	v_sub_f32_e32 v6, v16, v21
	;; [unrolled: 1-line block ×4, first 2 shown]
	v_lshl_add_u32 v75, v38, 3, v73
	v_mul_u32_u24_e32 v74, 6, v37
	s_waitcnt lgkmcnt(0)
	; wave barrier
	ds_write_b128 v75, v[25:28]
	ds_write_b128 v75, v[29:32] offset:16
	ds_write_b128 v75, v[33:36] offset:32
	s_and_saveexec_b64 s[0:1], vcc
	s_cbranch_execz .LBB0_7
; %bb.6:
	v_add_f32_e32 v1, v9, v1
	v_add_f32_e32 v0, v8, v0
	;; [unrolled: 1-line block ×8, first 2 shown]
	v_sub_f32_e32 v3, v9, v13
	v_sub_f32_e32 v2, v8, v12
	v_add_f32_e32 v11, v19, v22
	v_add_f32_e32 v9, v13, v9
	;; [unrolled: 1-line block ×4, first 2 shown]
	v_lshl_add_u32 v12, v74, 3, v73
	v_add_f32_e32 v1, v18, v23
	v_add_f32_e32 v0, v16, v21
	ds_write_b128 v12, v[8:11]
	ds_write_b128 v12, v[0:3] offset:16
	ds_write_b128 v12, v[4:7] offset:32
.LBB0_7:
	s_or_b64 exec, exec, s[0:1]
	v_add_u32_e32 v0, -6, v69
	v_cmp_gt_u16_e64 s[0:1], 6, v69
	v_cndmask_b32_e64 v39, v0, v69, s[0:1]
	v_mul_i32_i24_e32 v1, 0x48, v39
	v_mul_hi_i32_i24_e32 v0, 0x48, v39
	v_mov_b32_e32 v65, s3
	v_add_co_u32_e64 v20, s[0:1], s2, v1
	v_addc_co_u32_e64 v21, s[0:1], v65, v0, s[0:1]
	s_waitcnt lgkmcnt(0)
	; wave barrier
	s_waitcnt lgkmcnt(0)
	global_load_dwordx4 v[16:19], v[20:21], off
	global_load_dwordx4 v[12:15], v[20:21], off offset:16
	global_load_dwordx4 v[8:11], v[20:21], off offset:32
	;; [unrolled: 1-line block ×3, first 2 shown]
	global_load_dwordx2 v[55:56], v[20:21], off offset:64
	ds_read2_b64 v[20:23], v70 offset1:12
	ds_read2_b64 v[25:28], v70 offset0:24 offset1:36
	ds_read2_b64 v[29:32], v70 offset0:48 offset1:60
	;; [unrolled: 1-line block ×4, first 2 shown]
	v_mov_b32_e32 v38, v24
	s_mov_b32 s4, 0x3f737871
	s_mov_b32 s0, 0xbf737871
	s_mov_b32 s1, 0xbf167918
	s_mov_b32 s5, 0x3f167918
	s_waitcnt lgkmcnt(0)
	; wave barrier
	s_waitcnt lgkmcnt(0)
	v_or_b32_e32 v37, 48, v69
	s_waitcnt vmcnt(4)
	v_mul_f32_e32 v24, v23, v17
	v_mul_f32_e32 v62, v26, v19
	;; [unrolled: 1-line block ×3, first 2 shown]
	s_waitcnt vmcnt(3)
	v_mul_f32_e32 v64, v28, v13
	v_mul_f32_e32 v67, v30, v15
	s_waitcnt vmcnt(2)
	v_mul_f32_e32 v78, v34, v11
	s_waitcnt vmcnt(1)
	v_mul_f32_e32 v82, v58, v3
	v_mul_f32_e32 v61, v22, v17
	;; [unrolled: 1-line block ×7, first 2 shown]
	v_fma_f32 v25, v25, v18, -v62
	v_fmac_f32_e32 v63, v26, v18
	v_fma_f32 v26, v27, v12, -v64
	v_fma_f32 v27, v29, v14, -v67
	;; [unrolled: 1-line block ×5, first 2 shown]
	v_mul_f32_e32 v76, v32, v9
	v_mul_f32_e32 v79, v33, v11
	;; [unrolled: 1-line block ×3, first 2 shown]
	s_waitcnt vmcnt(0)
	v_mul_f32_e32 v85, v59, v56
	v_fmac_f32_e32 v77, v32, v8
	v_fmac_f32_e32 v61, v23, v16
	v_fma_f32 v23, v35, v0, -v80
	v_fmac_f32_e32 v81, v36, v0
	v_add_f32_e32 v32, v27, v22
	v_sub_f32_e32 v35, v25, v27
	v_sub_f32_e32 v36, v24, v22
	v_add_f32_e32 v57, v25, v24
	v_mul_f32_e32 v84, v60, v56
	v_fmac_f32_e32 v68, v30, v14
	v_fmac_f32_e32 v79, v34, v10
	;; [unrolled: 1-line block ×3, first 2 shown]
	v_fma_f32 v60, -0.5, v32, v20
	v_add_f32_e32 v32, v35, v36
	v_fma_f32 v35, -0.5, v57, v20
	v_fmac_f32_e32 v83, v58, v2
	v_sub_f32_e32 v34, v68, v79
	v_mov_b32_e32 v57, v35
	v_fma_f32 v30, v59, v55, -v84
	v_sub_f32_e32 v33, v63, v83
	v_sub_f32_e32 v58, v27, v25
	v_sub_f32_e32 v59, v22, v24
	v_fmac_f32_e32 v35, 0x3f737871, v34
	v_fmac_f32_e32 v57, 0xbf737871, v34
	;; [unrolled: 1-line block ×3, first 2 shown]
	v_fma_f32 v28, v31, v8, -v76
	v_add_f32_e32 v31, v20, v25
	v_add_f32_e32 v20, v58, v59
	v_fmac_f32_e32 v57, 0x3f167918, v33
	v_fmac_f32_e32 v35, 0xbf167918, v33
	;; [unrolled: 1-line block ×4, first 2 shown]
	v_add_f32_e32 v20, v21, v63
	v_add_f32_e32 v20, v20, v68
	v_mov_b32_e32 v36, v60
	v_add_f32_e32 v20, v20, v79
	v_fmac_f32_e32 v60, 0xbf737871, v33
	v_fmac_f32_e32 v36, 0x3f737871, v33
	v_add_f32_e32 v33, v20, v83
	v_add_f32_e32 v20, v68, v79
	;; [unrolled: 1-line block ×3, first 2 shown]
	v_fma_f32 v62, -0.5, v20, v21
	v_add_f32_e32 v31, v31, v22
	v_sub_f32_e32 v20, v25, v24
	v_mov_b32_e32 v58, v62
	v_add_f32_e32 v31, v31, v24
	v_fmac_f32_e32 v58, 0xbf737871, v20
	v_sub_f32_e32 v22, v27, v22
	v_sub_f32_e32 v24, v63, v68
	;; [unrolled: 1-line block ×3, first 2 shown]
	v_fmac_f32_e32 v62, 0x3f737871, v20
	v_fmac_f32_e32 v58, 0xbf167918, v22
	v_add_f32_e32 v24, v24, v25
	v_fmac_f32_e32 v62, 0x3f167918, v22
	v_fmac_f32_e32 v58, 0x3e9e377a, v24
	;; [unrolled: 1-line block ×3, first 2 shown]
	v_add_f32_e32 v24, v63, v83
	v_fma_f32 v64, -0.5, v24, v21
	v_mov_b32_e32 v67, v64
	v_fmac_f32_e32 v67, 0x3f737871, v22
	v_fmac_f32_e32 v64, 0xbf737871, v22
	;; [unrolled: 1-line block ×4, first 2 shown]
	v_add_f32_e32 v20, v29, v26
	v_add_f32_e32 v20, v20, v28
	v_fmac_f32_e32 v60, 0xbf167918, v34
	v_fmac_f32_e32 v36, 0x3f167918, v34
	v_add_f32_e32 v20, v20, v23
	v_fmac_f32_e32 v60, 0x3e9e377a, v32
	v_fmac_f32_e32 v36, 0x3e9e377a, v32
	v_sub_f32_e32 v21, v68, v63
	v_sub_f32_e32 v24, v79, v83
	v_add_f32_e32 v32, v20, v30
	v_add_f32_e32 v20, v28, v23
	v_add_f32_e32 v21, v21, v24
	v_fma_f32 v34, -0.5, v20, v29
	v_fmac_f32_e32 v67, 0x3e9e377a, v21
	v_fmac_f32_e32 v64, 0x3e9e377a, v21
	v_sub_f32_e32 v20, v66, v85
	v_mov_b32_e32 v21, v34
	v_fmac_f32_e32 v21, 0x3f737871, v20
	v_sub_f32_e32 v22, v77, v81
	v_sub_f32_e32 v24, v26, v28
	;; [unrolled: 1-line block ×3, first 2 shown]
	v_fmac_f32_e32 v34, 0xbf737871, v20
	v_fmac_f32_e32 v21, 0x3f167918, v22
	v_add_f32_e32 v24, v24, v25
	v_fmac_f32_e32 v34, 0xbf167918, v22
	v_fmac_f32_e32 v21, 0x3e9e377a, v24
	;; [unrolled: 1-line block ×3, first 2 shown]
	v_add_f32_e32 v24, v26, v30
	v_fmac_f32_e32 v29, -0.5, v24
	v_mov_b32_e32 v25, v29
	v_fmac_f32_e32 v25, 0xbf737871, v22
	v_fmac_f32_e32 v29, 0x3f737871, v22
	;; [unrolled: 1-line block ×4, first 2 shown]
	v_add_f32_e32 v20, v61, v66
	v_add_f32_e32 v20, v20, v77
	;; [unrolled: 1-line block ×5, first 2 shown]
	v_sub_f32_e32 v24, v28, v26
	v_sub_f32_e32 v27, v23, v30
	v_fma_f32 v59, -0.5, v20, v61
	v_add_f32_e32 v24, v24, v27
	v_sub_f32_e32 v20, v26, v30
	v_mov_b32_e32 v27, v59
	v_fmac_f32_e32 v25, 0x3e9e377a, v24
	v_fmac_f32_e32 v29, 0x3e9e377a, v24
	;; [unrolled: 1-line block ×3, first 2 shown]
	v_sub_f32_e32 v22, v28, v23
	v_sub_f32_e32 v23, v66, v77
	;; [unrolled: 1-line block ×3, first 2 shown]
	v_fmac_f32_e32 v59, 0x3f737871, v20
	v_fmac_f32_e32 v27, 0xbf167918, v22
	v_add_f32_e32 v23, v23, v24
	v_fmac_f32_e32 v59, 0x3f167918, v22
	v_fmac_f32_e32 v27, 0x3e9e377a, v23
	;; [unrolled: 1-line block ×3, first 2 shown]
	v_add_f32_e32 v23, v66, v85
	v_fmac_f32_e32 v61, -0.5, v23
	v_mov_b32_e32 v30, v61
	v_sub_f32_e32 v23, v77, v66
	v_sub_f32_e32 v24, v81, v85
	v_fmac_f32_e32 v61, 0xbf737871, v22
	v_fmac_f32_e32 v30, 0x3f737871, v22
	v_add_f32_e32 v23, v23, v24
	v_fmac_f32_e32 v61, 0x3f167918, v20
	v_fmac_f32_e32 v30, 0xbf167918, v20
	;; [unrolled: 1-line block ×3, first 2 shown]
	v_mul_f32_e32 v78, 0xbf167918, v21
	v_fmac_f32_e32 v30, 0x3e9e377a, v23
	v_mul_f32_e32 v66, 0x3f167918, v27
	v_mul_f32_e32 v23, 0x3e9e377a, v29
	v_fmac_f32_e32 v78, 0x3f4f1bbd, v27
	v_mul_f32_e32 v27, 0x3e9e377a, v61
	v_fma_f32 v76, v61, s4, -v23
	v_fma_f32 v61, v29, s0, -v27
	v_mul_f32_e32 v29, 0x3f4f1bbd, v59
	v_fmac_f32_e32 v66, 0x3f4f1bbd, v21
	v_mul_f32_e32 v79, 0xbf737871, v25
	v_fma_f32 v80, v34, s1, -v29
	v_cmp_lt_u16_e64 s[0:1], 5, v69
	v_add_f32_e32 v20, v31, v32
	v_add_f32_e32 v22, v36, v66
	v_mul_f32_e32 v68, 0x3f737871, v30
	v_fmac_f32_e32 v79, 0x3e9e377a, v30
	v_sub_f32_e32 v30, v31, v32
	v_sub_f32_e32 v32, v36, v66
	v_cndmask_b32_e64 v36, 0, 60, s[0:1]
	v_fmac_f32_e32 v68, 0x3e9e377a, v25
	v_mul_f32_e32 v23, 0x3f4f1bbd, v34
	v_add_u32_e32 v36, v39, v36
	v_add_f32_e32 v24, v57, v68
	v_add_f32_e32 v26, v35, v76
	v_fma_f32 v77, v59, s5, -v23
	v_add_f32_e32 v21, v33, v63
	v_add_f32_e32 v23, v58, v78
	v_sub_f32_e32 v34, v57, v68
	v_sub_f32_e32 v57, v35, v76
	v_lshl_add_u32 v76, v36, 3, v73
	v_add_f32_e32 v28, v60, v77
	v_add_f32_e32 v25, v67, v79
	;; [unrolled: 1-line block ×4, first 2 shown]
	v_sub_f32_e32 v59, v60, v77
	v_sub_f32_e32 v31, v33, v63
	;; [unrolled: 1-line block ×6, first 2 shown]
	ds_write2_b64 v76, v[20:21], v[22:23] offset1:6
	ds_write2_b64 v76, v[24:25], v[26:27] offset0:12 offset1:18
	ds_write2_b64 v76, v[28:29], v[30:31] offset0:24 offset1:30
	;; [unrolled: 1-line block ×4, first 2 shown]
	v_add_co_u32_e64 v20, s[0:1], -12, v69
	v_addc_co_u32_e64 v21, s[0:1], 0, -1, s[0:1]
	v_cmp_gt_u64_e64 s[0:1], 60, v[37:38]
	v_lshlrev_b32_e32 v26, 3, v69
	v_cndmask_b32_e64 v77, v20, v37, s[0:1]
	v_cndmask_b32_e64 v78, v21, 0, s[0:1]
	v_lshlrev_b64 v[20:21], 3, v[77:78]
	s_waitcnt lgkmcnt(0)
	v_add_co_u32_e64 v20, s[0:1], s2, v20
	; wave barrier
	global_load_dwordx2 v[57:58], v26, s[2:3] offset:432
	global_load_dwordx2 v[59:60], v26, s[2:3] offset:528
	;; [unrolled: 1-line block ×4, first 2 shown]
	v_addc_co_u32_e64 v21, s[0:1], v65, v21, s[0:1]
	global_load_dwordx2 v[65:66], v[20:21], off offset:432
	ds_read2_b64 v[22:25], v70 offset0:48 offset1:60
	ds_read2_b64 v[27:30], v70 offset1:12
	ds_read2_b64 v[31:34], v70 offset0:72 offset1:84
	ds_read2_b64 v[35:38], v70 offset0:96 offset1:108
	v_lshl_add_u32 v77, v77, 3, v73
	s_add_u32 s4, s14, 0x3c0
	s_addc_u32 s5, s15, 0
	s_waitcnt vmcnt(4) lgkmcnt(3)
	v_mul_f32_e32 v20, v25, v58
	v_fma_f32 v20, v24, v57, -v20
	v_mul_f32_e32 v21, v24, v58
	s_waitcnt vmcnt(3) lgkmcnt(1)
	v_mul_f32_e32 v24, v32, v60
	v_fmac_f32_e32 v21, v25, v57
	v_fma_f32 v24, v31, v59, -v24
	v_mul_f32_e32 v25, v31, v60
	s_waitcnt vmcnt(2)
	v_mul_f32_e32 v31, v34, v62
	v_fma_f32 v39, v33, v61, -v31
	s_waitcnt vmcnt(1) lgkmcnt(0)
	v_mul_f32_e32 v31, v36, v64
	v_mul_f32_e32 v67, v33, v62
	v_fma_f32 v68, v35, v63, -v31
	s_waitcnt vmcnt(0)
	v_mul_f32_e32 v31, v38, v66
	v_fmac_f32_e32 v25, v32, v59
	v_fmac_f32_e32 v67, v34, v61
	v_fma_f32 v81, v37, v65, -v31
	ds_read2_b64 v[31:34], v70 offset0:24 offset1:36
	v_mul_f32_e32 v82, v37, v66
	v_mul_f32_e32 v80, v35, v64
	v_fmac_f32_e32 v82, v38, v65
	v_fmac_f32_e32 v80, v36, v63
	v_sub_f32_e32 v37, v29, v24
	v_sub_f32_e32 v38, v30, v25
	s_waitcnt lgkmcnt(0)
	v_sub_f32_e32 v78, v31, v39
	v_sub_f32_e32 v79, v32, v67
	;; [unrolled: 1-line block ×8, first 2 shown]
	v_fma_f32 v31, v31, 2.0, -v78
	v_fma_f32 v32, v32, 2.0, -v79
	;; [unrolled: 1-line block ×10, first 2 shown]
	ds_write_b64 v70, v[35:36] offset:480
	ds_write2_b64 v70, v[27:28], v[29:30] offset1:12
	ds_write_b64 v70, v[37:38] offset:576
	ds_write2_b64 v70, v[31:32], v[67:68] offset0:24 offset1:36
	ds_write2_b64 v70, v[78:79], v[20:21] offset0:84 offset1:96
	ds_write2_b64 v77, v[22:23], v[24:25] offset1:60
	s_waitcnt lgkmcnt(0)
	; wave barrier
	s_waitcnt lgkmcnt(0)
	global_load_dwordx2 v[31:32], v[40:41], off offset:960
	global_load_dwordx2 v[35:36], v26, s[4:5] offset:160
	global_load_dwordx2 v[37:38], v26, s[4:5] offset:320
	;; [unrolled: 1-line block ×5, first 2 shown]
	ds_read2_b64 v[27:30], v70 offset1:20
	s_waitcnt vmcnt(5) lgkmcnt(0)
	v_mul_f32_e32 v33, v28, v32
	v_mul_f32_e32 v85, v27, v32
	v_fma_f32 v84, v27, v31, -v33
	v_fmac_f32_e32 v85, v28, v31
	ds_read2_b64 v[31:34], v70 offset0:40 offset1:60
	s_waitcnt vmcnt(4)
	v_mul_f32_e32 v27, v30, v36
	v_mul_f32_e32 v28, v29, v36
	v_fma_f32 v27, v29, v35, -v27
	v_fmac_f32_e32 v28, v30, v35
	ds_write2_b64 v70, v[84:85], v[27:28] offset1:20
	s_waitcnt vmcnt(3) lgkmcnt(1)
	v_mul_f32_e32 v27, v32, v38
	v_fma_f32 v35, v31, v37, -v27
	ds_read2_b64 v[27:30], v70 offset0:80 offset1:100
	v_mul_f32_e32 v36, v31, v38
	v_fmac_f32_e32 v36, v32, v37
	s_waitcnt vmcnt(2)
	v_mul_f32_e32 v31, v34, v79
	v_mul_f32_e32 v32, v33, v79
	v_fma_f32 v31, v33, v78, -v31
	v_fmac_f32_e32 v32, v34, v78
	ds_write2_b64 v70, v[35:36], v[31:32] offset0:40 offset1:60
	s_waitcnt vmcnt(1) lgkmcnt(1)
	v_mul_f32_e32 v31, v28, v81
	v_mul_f32_e32 v32, v27, v81
	v_fma_f32 v31, v27, v80, -v31
	v_fmac_f32_e32 v32, v28, v80
	s_waitcnt vmcnt(0)
	v_mul_f32_e32 v27, v30, v83
	v_mul_f32_e32 v28, v29, v83
	v_fma_f32 v27, v29, v82, -v27
	v_fmac_f32_e32 v28, v30, v82
	ds_write2_b64 v70, v[31:32], v[27:28] offset0:80 offset1:100
	s_and_saveexec_b64 s[2:3], vcc
	s_cbranch_execz .LBB0_9
; %bb.8:
	v_add_co_u32_e64 v30, s[0:1], s4, v26
	v_mov_b32_e32 v26, s5
	v_addc_co_u32_e64 v31, s[0:1], 0, v26, s[0:1]
	global_load_dwordx2 v[32:33], v[30:31], off offset:96
	ds_read2_b64 v[26:29], v70 offset0:12 offset1:32
	s_waitcnt vmcnt(0) lgkmcnt(0)
	v_mul_f32_e32 v34, v27, v33
	v_mul_f32_e32 v35, v26, v33
	v_fma_f32 v34, v26, v32, -v34
	v_fmac_f32_e32 v35, v27, v32
	global_load_dwordx2 v[26:27], v[30:31], off offset:256
	s_waitcnt vmcnt(0)
	v_mul_f32_e32 v32, v29, v27
	v_mul_f32_e32 v33, v28, v27
	v_fma_f32 v32, v28, v26, -v32
	v_fmac_f32_e32 v33, v29, v26
	ds_write2_b64 v70, v[34:35], v[32:33] offset0:12 offset1:32
	global_load_dwordx2 v[32:33], v[30:31], off offset:416
	ds_read2_b64 v[26:29], v70 offset0:52 offset1:72
	s_waitcnt vmcnt(0) lgkmcnt(0)
	v_mul_f32_e32 v34, v27, v33
	v_mul_f32_e32 v35, v26, v33
	v_fma_f32 v34, v26, v32, -v34
	v_fmac_f32_e32 v35, v27, v32
	global_load_dwordx2 v[26:27], v[30:31], off offset:576
	s_waitcnt vmcnt(0)
	v_mul_f32_e32 v32, v29, v27
	v_mul_f32_e32 v33, v28, v27
	v_fma_f32 v32, v28, v26, -v32
	v_fmac_f32_e32 v33, v29, v26
	ds_write2_b64 v70, v[34:35], v[32:33] offset0:52 offset1:72
	global_load_dwordx2 v[32:33], v[30:31], off offset:736
	ds_read2_b64 v[26:29], v70 offset0:92 offset1:112
	s_waitcnt vmcnt(0) lgkmcnt(0)
	v_mul_f32_e32 v34, v27, v33
	v_mul_f32_e32 v35, v26, v33
	v_fma_f32 v34, v26, v32, -v34
	v_fmac_f32_e32 v35, v27, v32
	global_load_dwordx2 v[26:27], v[30:31], off offset:896
	s_waitcnt vmcnt(0)
	v_mul_f32_e32 v30, v29, v27
	v_mul_f32_e32 v31, v28, v27
	v_fma_f32 v30, v28, v26, -v30
	v_fmac_f32_e32 v31, v29, v26
	ds_write2_b64 v70, v[34:35], v[30:31] offset0:92 offset1:112
.LBB0_9:
	s_or_b64 exec, exec, s[2:3]
	s_waitcnt lgkmcnt(0)
	; wave barrier
	s_waitcnt lgkmcnt(0)
	ds_read2_b64 v[28:31], v70 offset1:20
	ds_read2_b64 v[32:35], v70 offset0:40 offset1:60
	ds_read2_b64 v[36:39], v70 offset0:80 offset1:100
	s_and_saveexec_b64 s[0:1], vcc
	s_cbranch_execz .LBB0_11
; %bb.10:
	v_lshl_add_u32 v4, v69, 3, v73
	ds_read2_b64 v[20:23], v4 offset0:32 offset1:52
	ds_read2_b64 v[24:27], v4 offset0:72 offset1:92
	ds_read_b64 v[67:68], v70 offset:96
	ds_read_b64 v[6:7], v4 offset:896
	s_waitcnt lgkmcnt(2)
	v_mov_b32_e32 v4, v26
	v_mov_b32_e32 v5, v27
.LBB0_11:
	s_or_b64 exec, exec, s[0:1]
	s_waitcnt lgkmcnt(0)
	v_add_f32_e32 v79, v32, v36
	v_fma_f32 v79, -0.5, v79, v28
	v_add_f32_e32 v78, v28, v32
	v_sub_f32_e32 v28, v33, v37
	v_mov_b32_e32 v80, v79
	v_fmac_f32_e32 v80, 0xbf5db3d7, v28
	v_fmac_f32_e32 v79, 0x3f5db3d7, v28
	v_add_f32_e32 v28, v29, v33
	v_add_f32_e32 v81, v28, v37
	;; [unrolled: 1-line block ×3, first 2 shown]
	v_fma_f32 v82, -0.5, v28, v29
	v_sub_f32_e32 v28, v32, v36
	v_mov_b32_e32 v37, v82
	v_fmac_f32_e32 v37, 0x3f5db3d7, v28
	v_fmac_f32_e32 v82, 0xbf5db3d7, v28
	v_add_f32_e32 v28, v30, v34
	v_add_f32_e32 v78, v78, v36
	;; [unrolled: 1-line block ×4, first 2 shown]
	v_fma_f32 v29, -0.5, v28, v30
	v_sub_f32_e32 v28, v35, v39
	v_mov_b32_e32 v30, v29
	v_fmac_f32_e32 v30, 0xbf5db3d7, v28
	v_fmac_f32_e32 v29, 0x3f5db3d7, v28
	v_add_f32_e32 v28, v31, v35
	v_add_f32_e32 v83, v28, v39
	;; [unrolled: 1-line block ×3, first 2 shown]
	v_fmac_f32_e32 v31, -0.5, v28
	v_sub_f32_e32 v28, v34, v38
	v_mov_b32_e32 v35, v31
	v_fmac_f32_e32 v35, 0x3f5db3d7, v28
	v_fmac_f32_e32 v31, 0xbf5db3d7, v28
	v_mul_f32_e32 v38, 0xbf5db3d7, v35
	v_mul_f32_e32 v84, 0.5, v35
	v_fmac_f32_e32 v38, 0.5, v30
	v_mul_f32_e32 v39, 0xbf5db3d7, v31
	v_fmac_f32_e32 v84, 0x3f5db3d7, v30
	v_mul_f32_e32 v85, -0.5, v31
	v_add_u32_e32 v27, 0xc0, v70
	v_add_u32_e32 v26, 0x120, v70
	v_add_f32_e32 v32, v78, v36
	v_add_f32_e32 v34, v80, v38
	v_fmac_f32_e32 v39, -0.5, v29
	v_add_f32_e32 v33, v81, v83
	v_add_f32_e32 v35, v37, v84
	v_fmac_f32_e32 v85, 0x3f5db3d7, v29
	v_add_f32_e32 v28, v79, v39
	v_add_f32_e32 v29, v82, v85
	v_sub_f32_e32 v30, v78, v36
	v_sub_f32_e32 v36, v80, v38
	;; [unrolled: 1-line block ×6, first 2 shown]
	s_waitcnt lgkmcnt(0)
	; wave barrier
	ds_write_b128 v75, v[32:35]
	ds_write_b128 v75, v[28:31] offset:16
	ds_write_b128 v75, v[36:39] offset:32
	s_and_saveexec_b64 s[0:1], vcc
	s_cbranch_execz .LBB0_13
; %bb.12:
	v_add_f32_e32 v28, v5, v23
	v_fma_f32 v32, -0.5, v28, v68
	v_add_f32_e32 v29, v24, v6
	v_add_f32_e32 v31, v25, v7
	v_sub_f32_e32 v28, v22, v4
	v_mov_b32_e32 v33, v32
	v_fma_f32 v34, -0.5, v29, v20
	v_sub_f32_e32 v29, v25, v7
	v_fma_f32 v35, -0.5, v31, v21
	v_add_f32_e32 v21, v21, v25
	v_add_f32_e32 v25, v4, v22
	v_fmac_f32_e32 v33, 0xbf5db3d7, v28
	v_sub_f32_e32 v36, v24, v6
	v_fmac_f32_e32 v32, 0x3f5db3d7, v28
	v_add_f32_e32 v28, v23, v68
	v_fma_f32 v25, -0.5, v25, v67
	v_mov_b32_e32 v37, v35
	v_fmac_f32_e32 v35, 0x3f5db3d7, v36
	v_add_f32_e32 v39, v5, v28
	v_sub_f32_e32 v5, v23, v5
	v_mov_b32_e32 v68, v25
	v_mov_b32_e32 v30, v34
	v_fmac_f32_e32 v37, 0xbf5db3d7, v36
	v_fmac_f32_e32 v34, 0xbf5db3d7, v29
	v_mul_f32_e32 v36, 0.5, v35
	v_fmac_f32_e32 v68, 0x3f5db3d7, v5
	v_fmac_f32_e32 v25, 0xbf5db3d7, v5
	v_mul_f32_e32 v35, 0xbf5db3d7, v35
	v_add_f32_e32 v5, v22, v67
	v_fmac_f32_e32 v36, 0x3f5db3d7, v34
	v_fmac_f32_e32 v35, 0.5, v34
	v_add_f32_e32 v34, v4, v5
	v_add_f32_e32 v4, v20, v24
	v_fmac_f32_e32 v30, 0x3f5db3d7, v29
	v_mul_f32_e32 v38, -0.5, v37
	v_add_f32_e32 v21, v21, v7
	v_mul_f32_e32 v37, 0xbf5db3d7, v37
	v_add_f32_e32 v20, v4, v6
	v_fmac_f32_e32 v38, 0x3f5db3d7, v30
	v_sub_f32_e32 v7, v39, v21
	v_fmac_f32_e32 v37, -0.5, v30
	v_sub_f32_e32 v6, v34, v20
	v_add_f32_e32 v23, v32, v36
	v_add_f32_e32 v21, v21, v39
	;; [unrolled: 1-line block ×4, first 2 shown]
	v_lshl_add_u32 v24, v74, 3, v73
	v_sub_f32_e32 v31, v33, v38
	v_sub_f32_e32 v29, v32, v36
	;; [unrolled: 1-line block ×4, first 2 shown]
	v_add_f32_e32 v5, v33, v38
	v_add_f32_e32 v4, v68, v37
	ds_write_b128 v24, v[20:23]
	ds_write_b128 v24, v[4:7] offset:16
	ds_write_b128 v24, v[28:31] offset:32
.LBB0_13:
	s_or_b64 exec, exec, s[0:1]
	s_waitcnt lgkmcnt(0)
	; wave barrier
	s_waitcnt lgkmcnt(0)
	ds_read2_b64 v[4:7], v70 offset1:12
	ds_read2_b64 v[20:23], v70 offset0:24 offset1:36
	ds_read2_b64 v[28:31], v70 offset0:48 offset1:60
	;; [unrolled: 1-line block ×4, first 2 shown]
	s_waitcnt lgkmcnt(4)
	v_mul_f32_e32 v67, v17, v7
	v_fmac_f32_e32 v67, v16, v6
	v_mul_f32_e32 v6, v17, v6
	s_waitcnt lgkmcnt(3)
	v_mul_f32_e32 v17, v13, v23
	v_mul_f32_e32 v13, v13, v22
	v_fmac_f32_e32 v17, v12, v22
	v_fma_f32 v12, v12, v23, -v13
	s_waitcnt lgkmcnt(2)
	v_mul_f32_e32 v13, v15, v29
	v_mul_f32_e32 v15, v15, v28
	v_fmac_f32_e32 v13, v14, v28
	v_fma_f32 v14, v14, v29, -v15
	v_mul_f32_e32 v15, v9, v31
	v_mul_f32_e32 v9, v9, v30
	v_fmac_f32_e32 v15, v8, v30
	v_fma_f32 v8, v8, v31, -v9
	s_waitcnt lgkmcnt(1)
	v_mul_f32_e32 v9, v11, v33
	v_mul_f32_e32 v11, v11, v32
	v_fma_f32 v7, v16, v7, -v6
	v_mul_f32_e32 v6, v19, v21
	v_fmac_f32_e32 v9, v10, v32
	v_fma_f32 v10, v10, v33, -v11
	v_mul_f32_e32 v11, v1, v35
	v_mul_f32_e32 v1, v1, v34
	v_fmac_f32_e32 v6, v18, v20
	v_mul_f32_e32 v16, v19, v20
	v_fmac_f32_e32 v11, v0, v34
	v_fma_f32 v0, v0, v35, -v1
	s_waitcnt lgkmcnt(0)
	v_mul_f32_e32 v1, v3, v37
	v_mul_f32_e32 v3, v3, v36
	v_add_f32_e32 v20, v13, v9
	v_fma_f32 v16, v18, v21, -v16
	v_fmac_f32_e32 v1, v2, v36
	v_fma_f32 v2, v2, v37, -v3
	v_fma_f32 v20, -0.5, v20, v4
	v_sub_f32_e32 v21, v16, v2
	v_mov_b32_e32 v22, v20
	v_fmac_f32_e32 v22, 0xbf737871, v21
	v_sub_f32_e32 v23, v14, v10
	v_sub_f32_e32 v28, v6, v13
	;; [unrolled: 1-line block ×3, first 2 shown]
	v_fmac_f32_e32 v20, 0x3f737871, v21
	v_fmac_f32_e32 v22, 0xbf167918, v23
	v_add_f32_e32 v28, v28, v29
	v_fmac_f32_e32 v20, 0x3f167918, v23
	v_fmac_f32_e32 v22, 0x3e9e377a, v28
	;; [unrolled: 1-line block ×3, first 2 shown]
	v_add_f32_e32 v28, v6, v1
	v_fma_f32 v28, -0.5, v28, v4
	v_mov_b32_e32 v29, v28
	v_add_f32_e32 v19, v4, v6
	v_fmac_f32_e32 v29, 0x3f737871, v23
	v_sub_f32_e32 v4, v13, v6
	v_sub_f32_e32 v30, v9, v1
	v_fmac_f32_e32 v28, 0xbf737871, v23
	v_fmac_f32_e32 v29, 0xbf167918, v21
	v_add_f32_e32 v4, v4, v30
	v_fmac_f32_e32 v28, 0x3f167918, v21
	v_fmac_f32_e32 v29, 0x3e9e377a, v4
	;; [unrolled: 1-line block ×3, first 2 shown]
	v_add_f32_e32 v4, v5, v16
	v_add_f32_e32 v4, v4, v14
	;; [unrolled: 1-line block ×7, first 2 shown]
	v_fma_f32 v23, -0.5, v4, v5
	v_add_f32_e32 v19, v19, v1
	v_sub_f32_e32 v1, v6, v1
	v_mov_b32_e32 v30, v23
	v_fmac_f32_e32 v30, 0x3f737871, v1
	v_sub_f32_e32 v4, v13, v9
	v_sub_f32_e32 v6, v16, v14
	;; [unrolled: 1-line block ×3, first 2 shown]
	v_fmac_f32_e32 v23, 0xbf737871, v1
	v_fmac_f32_e32 v30, 0x3f167918, v4
	v_add_f32_e32 v6, v6, v9
	v_fmac_f32_e32 v23, 0xbf167918, v4
	v_fmac_f32_e32 v30, 0x3e9e377a, v6
	;; [unrolled: 1-line block ×3, first 2 shown]
	v_add_f32_e32 v6, v16, v2
	v_fma_f32 v31, -0.5, v6, v5
	v_mov_b32_e32 v32, v31
	v_fmac_f32_e32 v32, 0xbf737871, v4
	v_fmac_f32_e32 v31, 0x3f737871, v4
	;; [unrolled: 1-line block ×4, first 2 shown]
	v_add_f32_e32 v1, v67, v17
	v_mul_f32_e32 v3, v56, v39
	v_add_f32_e32 v1, v1, v15
	v_fmac_f32_e32 v3, v55, v38
	v_add_f32_e32 v1, v1, v11
	v_mul_f32_e32 v18, v56, v38
	v_sub_f32_e32 v2, v10, v2
	v_add_f32_e32 v10, v1, v3
	v_add_f32_e32 v1, v15, v11
	v_fma_f32 v18, v55, v39, -v18
	v_sub_f32_e32 v5, v14, v16
	v_fma_f32 v9, -0.5, v1, v67
	v_add_f32_e32 v2, v5, v2
	v_sub_f32_e32 v1, v12, v18
	v_mov_b32_e32 v5, v9
	v_fmac_f32_e32 v32, 0x3e9e377a, v2
	v_fmac_f32_e32 v31, 0x3e9e377a, v2
	;; [unrolled: 1-line block ×3, first 2 shown]
	v_sub_f32_e32 v2, v8, v0
	v_sub_f32_e32 v4, v17, v15
	;; [unrolled: 1-line block ×3, first 2 shown]
	v_fmac_f32_e32 v9, 0x3f737871, v1
	v_fmac_f32_e32 v5, 0xbf167918, v2
	v_add_f32_e32 v4, v4, v6
	v_fmac_f32_e32 v9, 0x3f167918, v2
	v_fmac_f32_e32 v5, 0x3e9e377a, v4
	;; [unrolled: 1-line block ×3, first 2 shown]
	v_add_f32_e32 v4, v17, v3
	v_fmac_f32_e32 v67, -0.5, v4
	v_mov_b32_e32 v13, v67
	v_fmac_f32_e32 v13, 0x3f737871, v2
	v_fmac_f32_e32 v67, 0xbf737871, v2
	;; [unrolled: 1-line block ×4, first 2 shown]
	v_add_f32_e32 v1, v7, v12
	v_add_f32_e32 v1, v1, v8
	;; [unrolled: 1-line block ×5, first 2 shown]
	v_sub_f32_e32 v4, v15, v17
	v_sub_f32_e32 v6, v11, v3
	v_fma_f32 v14, -0.5, v1, v7
	v_add_f32_e32 v4, v4, v6
	v_sub_f32_e32 v1, v17, v3
	v_mov_b32_e32 v3, v14
	v_fmac_f32_e32 v13, 0x3e9e377a, v4
	v_fmac_f32_e32 v67, 0x3e9e377a, v4
	;; [unrolled: 1-line block ×3, first 2 shown]
	v_sub_f32_e32 v2, v15, v11
	v_sub_f32_e32 v4, v12, v8
	v_sub_f32_e32 v6, v18, v0
	v_fmac_f32_e32 v14, 0xbf737871, v1
	v_fmac_f32_e32 v3, 0x3f167918, v2
	v_add_f32_e32 v4, v4, v6
	v_fmac_f32_e32 v14, 0xbf167918, v2
	v_fmac_f32_e32 v3, 0x3e9e377a, v4
	;; [unrolled: 1-line block ×3, first 2 shown]
	v_add_f32_e32 v4, v12, v18
	v_fmac_f32_e32 v7, -0.5, v4
	v_mov_b32_e32 v11, v7
	v_fmac_f32_e32 v11, 0xbf737871, v2
	v_sub_f32_e32 v4, v8, v12
	v_sub_f32_e32 v0, v0, v18
	v_fmac_f32_e32 v7, 0x3f737871, v2
	v_fmac_f32_e32 v11, 0x3f167918, v1
	v_add_f32_e32 v0, v4, v0
	v_fmac_f32_e32 v7, 0xbf167918, v1
	v_fmac_f32_e32 v11, 0x3e9e377a, v0
	;; [unrolled: 1-line block ×3, first 2 shown]
	v_mul_f32_e32 v12, 0xbf167918, v3
	v_mul_f32_e32 v15, 0xbf737871, v11
	;; [unrolled: 1-line block ×8, first 2 shown]
	v_fmac_f32_e32 v12, 0x3f4f1bbd, v5
	v_fmac_f32_e32 v15, 0x3e9e377a, v13
	;; [unrolled: 1-line block ×8, first 2 shown]
	v_add_f32_e32 v0, v19, v10
	v_add_f32_e32 v2, v22, v12
	;; [unrolled: 1-line block ×10, first 2 shown]
	v_sub_f32_e32 v10, v19, v10
	v_sub_f32_e32 v12, v22, v12
	;; [unrolled: 1-line block ×10, first 2 shown]
	s_waitcnt lgkmcnt(0)
	; wave barrier
	ds_write2_b64 v76, v[0:1], v[2:3] offset1:6
	ds_write2_b64 v76, v[4:5], v[6:7] offset0:12 offset1:18
	ds_write2_b64 v76, v[8:9], v[10:11] offset0:24 offset1:30
	;; [unrolled: 1-line block ×4, first 2 shown]
	s_waitcnt lgkmcnt(0)
	; wave barrier
	s_waitcnt lgkmcnt(0)
	ds_read2_b64 v[0:3], v70 offset0:48 offset1:60
	ds_read2_b64 v[4:7], v70 offset1:12
	ds_read2_b64 v[8:11], v70 offset0:72 offset1:84
	ds_read2_b64 v[12:15], v70 offset0:24 offset1:36
	;; [unrolled: 1-line block ×3, first 2 shown]
	s_waitcnt lgkmcnt(4)
	v_mul_f32_e32 v20, v58, v3
	v_fmac_f32_e32 v20, v57, v2
	v_mul_f32_e32 v2, v58, v2
	v_fma_f32 v3, v57, v3, -v2
	s_waitcnt lgkmcnt(2)
	v_mul_f32_e32 v2, v60, v8
	v_mul_f32_e32 v21, v60, v9
	v_fma_f32 v9, v59, v9, -v2
	v_mul_f32_e32 v2, v62, v10
	v_mul_f32_e32 v22, v62, v11
	v_fma_f32 v11, v61, v11, -v2
	s_waitcnt lgkmcnt(0)
	v_mul_f32_e32 v2, v64, v16
	v_mul_f32_e32 v23, v64, v17
	v_fma_f32 v17, v63, v17, -v2
	v_mul_f32_e32 v28, v66, v19
	v_mul_f32_e32 v2, v66, v18
	v_fmac_f32_e32 v21, v59, v8
	v_fmac_f32_e32 v28, v65, v18
	v_fma_f32 v19, v65, v19, -v2
	v_fmac_f32_e32 v22, v61, v10
	v_fmac_f32_e32 v23, v63, v16
	v_sub_f32_e32 v2, v4, v20
	v_sub_f32_e32 v3, v5, v3
	;; [unrolled: 1-line block ×6, first 2 shown]
	v_fma_f32 v4, v4, 2.0, -v2
	v_fma_f32 v5, v5, 2.0, -v3
	;; [unrolled: 1-line block ×4, first 2 shown]
	v_sub_f32_e32 v10, v12, v22
	v_sub_f32_e32 v11, v13, v11
	;; [unrolled: 1-line block ×4, first 2 shown]
	v_fma_f32 v0, v0, 2.0, -v18
	v_fma_f32 v1, v1, 2.0, -v19
	;; [unrolled: 1-line block ×6, first 2 shown]
	ds_write2_b64 v70, v[4:5], v[6:7] offset1:12
	ds_write2_b64 v70, v[2:3], v[8:9] offset0:60 offset1:72
	ds_write_b64 v27, v[10:11] offset:480
	ds_write2_b64 v70, v[12:13], v[14:15] offset0:24 offset1:36
	ds_write_b64 v26, v[16:17] offset:480
	ds_write2_b64 v77, v[0:1], v[18:19] offset1:60
	s_waitcnt lgkmcnt(0)
	; wave barrier
	s_waitcnt lgkmcnt(0)
	ds_read2_b64 v[0:3], v70 offset1:20
	s_mov_b32 s2, 0x11111111
	s_mov_b32 s3, 0x3f811111
	v_mad_u64_u32 v[24:25], s[0:1], s10, v42, 0
	s_waitcnt lgkmcnt(0)
	v_mul_f32_e32 v5, v54, v1
	v_fmac_f32_e32 v5, v53, v0
	v_cvt_f64_f32_e32 v[5:6], v5
	v_mul_f32_e32 v0, v54, v0
	v_fma_f32 v0, v53, v1, -v0
	v_cvt_f64_f32_e32 v[0:1], v0
	v_mul_f64 v[5:6], v[5:6], s[2:3]
	v_mad_u64_u32 v[7:8], s[0:1], s8, v69, 0
	v_mov_b32_e32 v4, v25
	v_mul_f64 v[0:1], v[0:1], s[2:3]
	s_mul_i32 s5, s8, 0xa0
	v_mad_u64_u32 v[9:10], s[0:1], s11, v42, v[4:5]
	v_mov_b32_e32 v4, v8
	v_mad_u64_u32 v[10:11], s[0:1], s9, v69, v[4:5]
	v_mov_b32_e32 v25, v9
	v_mul_f32_e32 v9, v52, v3
	v_fmac_f32_e32 v9, v51, v2
	v_mul_f32_e32 v2, v52, v2
	v_fma_f32 v2, v51, v3, -v2
	v_cvt_f32_f64_e32 v4, v[5:6]
	v_cvt_f32_f64_e32 v5, v[0:1]
	v_mov_b32_e32 v8, v10
	v_lshlrev_b64 v[0:1], 3, v[24:25]
	v_cvt_f64_f32_e32 v[9:10], v9
	v_cvt_f64_f32_e32 v[11:12], v2
	v_mov_b32_e32 v6, s7
	v_add_co_u32_e64 v2, s[0:1], s6, v0
	v_addc_co_u32_e64 v3, s[0:1], v6, v1, s[0:1]
	v_lshlrev_b64 v[0:1], 3, v[7:8]
	v_mul_f64 v[8:9], v[9:10], s[2:3]
	v_mul_f64 v[10:11], v[11:12], s[2:3]
	v_add_co_u32_e64 v0, s[0:1], v2, v0
	v_addc_co_u32_e64 v1, s[0:1], v3, v1, s[0:1]
	global_store_dwordx2 v[0:1], v[4:5], off
	ds_read2_b64 v[4:7], v70 offset0:40 offset1:60
	v_cvt_f32_f64_e32 v8, v[8:9]
	v_cvt_f32_f64_e32 v9, v[10:11]
	s_mul_i32 s0, s9, 0xa0
	s_mul_hi_u32 s1, s8, 0xa0
	s_waitcnt lgkmcnt(0)
	v_mul_f32_e32 v10, v50, v5
	v_fmac_f32_e32 v10, v49, v4
	v_mul_f32_e32 v4, v50, v4
	v_fma_f32 v4, v49, v5, -v4
	v_cvt_f64_f32_e32 v[10:11], v10
	v_cvt_f64_f32_e32 v[4:5], v4
	s_add_i32 s4, s1, s0
	v_mov_b32_e32 v12, s4
	v_add_co_u32_e64 v0, s[0:1], s5, v0
	v_mul_f64 v[10:11], v[10:11], s[2:3]
	v_addc_co_u32_e64 v1, s[0:1], v1, v12, s[0:1]
	v_mul_f64 v[4:5], v[4:5], s[2:3]
	global_store_dwordx2 v[0:1], v[8:9], off
	v_mul_f32_e32 v9, v48, v7
	v_fmac_f32_e32 v9, v47, v6
	v_mul_f32_e32 v6, v48, v6
	v_fma_f32 v6, v47, v7, -v6
	v_cvt_f64_f32_e32 v[6:7], v6
	v_cvt_f32_f64_e32 v8, v[10:11]
	v_cvt_f64_f32_e32 v[10:11], v9
	v_cvt_f32_f64_e32 v9, v[4:5]
	v_mul_f64 v[12:13], v[6:7], s[2:3]
	ds_read2_b64 v[4:7], v70 offset0:80 offset1:100
	v_mov_b32_e32 v14, s4
	v_add_co_u32_e64 v0, s[0:1], s5, v0
	v_addc_co_u32_e64 v1, s[0:1], v1, v14, s[0:1]
	global_store_dwordx2 v[0:1], v[8:9], off
	s_waitcnt lgkmcnt(0)
	v_mul_f32_e32 v8, v46, v5
	v_mul_f64 v[10:11], v[10:11], s[2:3]
	v_fmac_f32_e32 v8, v45, v4
	v_cvt_f64_f32_e32 v[8:9], v8
	v_mul_f32_e32 v4, v46, v4
	v_add_co_u32_e64 v0, s[0:1], s5, v0
	v_mul_f64 v[8:9], v[8:9], s[2:3]
	v_fma_f32 v4, v45, v5, -v4
	v_cvt_f32_f64_e32 v10, v[10:11]
	v_cvt_f32_f64_e32 v11, v[12:13]
	v_mov_b32_e32 v12, s4
	v_addc_co_u32_e64 v1, s[0:1], v1, v12, s[0:1]
	v_cvt_f64_f32_e32 v[4:5], v4
	v_mad_u64_u32 v[12:13], s[0:1], s8, v72, 0
	v_cvt_f32_f64_e32 v8, v[8:9]
	v_mul_f64 v[4:5], v[4:5], s[2:3]
	v_mov_b32_e32 v9, v13
	global_store_dwordx2 v[0:1], v[10:11], off
	v_mad_u64_u32 v[10:11], s[0:1], s9, v72, v[9:10]
	v_mul_f32_e32 v9, v44, v7
	v_fmac_f32_e32 v9, v43, v6
	v_mul_f32_e32 v6, v44, v6
	v_fma_f32 v6, v43, v7, -v6
	v_cvt_f64_f32_e32 v[14:15], v9
	v_cvt_f64_f32_e32 v[6:7], v6
	v_cvt_f32_f64_e32 v9, v[4:5]
	v_mov_b32_e32 v13, v10
	v_mul_f64 v[4:5], v[14:15], s[2:3]
	v_mul_f64 v[6:7], v[6:7], s[2:3]
	v_lshlrev_b64 v[10:11], 3, v[12:13]
	v_add_co_u32_e64 v10, s[0:1], v2, v10
	v_addc_co_u32_e64 v11, s[0:1], v3, v11, s[0:1]
	s_mul_i32 s0, s9, 40
	s_mul_hi_u32 s1, s8, 40
	v_cvt_f32_f64_e32 v4, v[4:5]
	v_cvt_f32_f64_e32 v5, v[6:7]
	s_add_i32 s1, s1, s0
	s_mul_i32 s0, s8, 40
	s_lshl_b64 s[4:5], s[0:1], 3
	v_mov_b32_e32 v6, s5
	v_add_co_u32_e64 v0, s[0:1], s4, v0
	v_addc_co_u32_e64 v1, s[0:1], v1, v6, s[0:1]
	global_store_dwordx2 v[10:11], v[8:9], off
	global_store_dwordx2 v[0:1], v[4:5], off
	s_and_b64 exec, exec, vcc
	s_cbranch_execz .LBB0_15
; %bb.14:
	global_load_dwordx2 v[16:17], v[40:41], off offset:96
	global_load_dwordx2 v[18:19], v[40:41], off offset:256
	;; [unrolled: 1-line block ×6, first 2 shown]
	v_mov_b32_e32 v30, 0xfffffd40
	v_or_b32_e32 v34, 0x48, v69
	v_mad_u64_u32 v[28:29], s[0:1], s8, v71, 0
	v_mad_u64_u32 v[0:1], s[0:1], s8, v30, v[0:1]
	;; [unrolled: 1-line block ×3, first 2 shown]
	ds_read2_b64 v[4:7], v70 offset0:12 offset1:32
	ds_read2_b64 v[8:11], v70 offset0:52 offset1:72
	v_mad_u64_u32 v[32:33], s[0:1], s9, v71, v[29:30]
	v_mov_b32_e32 v29, v31
	v_mad_u64_u32 v[33:34], s[0:1], s9, v34, v[29:30]
	ds_read2_b64 v[12:15], v70 offset0:92 offset1:112
	v_mov_b32_e32 v29, v32
	v_mov_b32_e32 v31, v33
	s_mul_i32 s6, s9, 0xfffffd40
	v_mov_b32_e32 v36, s5
	s_sub_i32 s5, s6, s8
	v_add_u32_e32 v1, s5, v1
	v_add_co_u32_e32 v34, vcc, s4, v0
	v_lshlrev_b64 v[28:29], 3, v[28:29]
	v_addc_co_u32_e32 v35, vcc, v1, v36, vcc
	v_lshlrev_b64 v[30:31], 3, v[30:31]
	v_add_co_u32_e32 v28, vcc, v2, v28
	v_addc_co_u32_e32 v29, vcc, v3, v29, vcc
	v_add_co_u32_e32 v30, vcc, v2, v30
	v_addc_co_u32_e32 v31, vcc, v3, v31, vcc
	s_waitcnt vmcnt(5) lgkmcnt(2)
	v_mul_f32_e32 v32, v5, v17
	v_mul_f32_e32 v17, v4, v17
	s_waitcnt vmcnt(4)
	v_mul_f32_e32 v33, v7, v19
	v_mul_f32_e32 v19, v6, v19
	v_fmac_f32_e32 v32, v4, v16
	v_fma_f32 v16, v16, v5, -v17
	s_waitcnt vmcnt(3) lgkmcnt(1)
	v_mul_f32_e32 v37, v9, v21
	v_mul_f32_e32 v21, v8, v21
	s_waitcnt vmcnt(2)
	v_mul_f32_e32 v38, v11, v23
	v_mul_f32_e32 v23, v10, v23
	v_fmac_f32_e32 v33, v6, v18
	v_fma_f32 v17, v18, v7, -v19
	v_cvt_f64_f32_e32 v[4:5], v32
	v_cvt_f64_f32_e32 v[6:7], v16
	s_waitcnt vmcnt(1) lgkmcnt(0)
	v_mul_f32_e32 v39, v13, v25
	v_mul_f32_e32 v25, v12, v25
	v_fmac_f32_e32 v37, v8, v20
	v_fma_f32 v18, v20, v9, -v21
	v_fmac_f32_e32 v38, v10, v22
	v_fma_f32 v20, v22, v11, -v23
	v_cvt_f64_f32_e32 v[8:9], v33
	v_cvt_f64_f32_e32 v[10:11], v17
	v_fmac_f32_e32 v39, v12, v24
	v_fma_f32 v24, v24, v13, -v25
	v_cvt_f64_f32_e32 v[12:13], v37
	v_cvt_f64_f32_e32 v[16:17], v18
	;; [unrolled: 1-line block ×4, first 2 shown]
	v_mul_f64 v[4:5], v[4:5], s[2:3]
	v_mul_f64 v[6:7], v[6:7], s[2:3]
	;; [unrolled: 1-line block ×8, first 2 shown]
	v_cvt_f32_f64_e32 v4, v[4:5]
	v_cvt_f32_f64_e32 v5, v[6:7]
	;; [unrolled: 1-line block ×8, first 2 shown]
	s_waitcnt vmcnt(0)
	v_mul_f32_e32 v40, v15, v27
	global_store_dwordx2 v[0:1], v[4:5], off
	global_store_dwordx2 v[28:29], v[6:7], off
	;; [unrolled: 1-line block ×4, first 2 shown]
	v_mul_f32_e32 v0, v14, v27
	v_fmac_f32_e32 v40, v14, v26
	v_fma_f32 v0, v26, v15, -v0
	v_cvt_f64_f32_e32 v[22:23], v39
	v_cvt_f64_f32_e32 v[24:25], v24
	;; [unrolled: 1-line block ×4, first 2 shown]
	v_or_b32_e32 v10, 0x70, v69
	v_mad_u64_u32 v[6:7], s[0:1], s8, v10, 0
	v_mul_f64 v[22:23], v[22:23], s[2:3]
	v_mul_f64 v[24:25], v[24:25], s[2:3]
	;; [unrolled: 1-line block ×4, first 2 shown]
	v_add_co_u32_e32 v8, vcc, s4, v34
	v_mad_u64_u32 v[10:11], s[0:1], s9, v10, v[7:8]
	v_cvt_f32_f64_e32 v12, v[22:23]
	v_cvt_f32_f64_e32 v13, v[24:25]
	v_mov_b32_e32 v7, v10
	v_cvt_f32_f64_e32 v4, v[4:5]
	v_cvt_f32_f64_e32 v5, v[0:1]
	v_lshlrev_b64 v[0:1], 3, v[6:7]
	v_addc_co_u32_e32 v9, vcc, v35, v36, vcc
	v_add_co_u32_e32 v0, vcc, v2, v0
	v_addc_co_u32_e32 v1, vcc, v3, v1, vcc
	global_store_dwordx2 v[8:9], v[12:13], off
	global_store_dwordx2 v[0:1], v[4:5], off
.LBB0_15:
	s_endpgm
	.section	.rodata,"a",@progbits
	.p2align	6, 0x0
	.amdhsa_kernel bluestein_single_fwd_len120_dim1_sp_op_CI_CI
		.amdhsa_group_segment_fixed_size 4800
		.amdhsa_private_segment_fixed_size 0
		.amdhsa_kernarg_size 104
		.amdhsa_user_sgpr_count 6
		.amdhsa_user_sgpr_private_segment_buffer 1
		.amdhsa_user_sgpr_dispatch_ptr 0
		.amdhsa_user_sgpr_queue_ptr 0
		.amdhsa_user_sgpr_kernarg_segment_ptr 1
		.amdhsa_user_sgpr_dispatch_id 0
		.amdhsa_user_sgpr_flat_scratch_init 0
		.amdhsa_user_sgpr_private_segment_size 0
		.amdhsa_uses_dynamic_stack 0
		.amdhsa_system_sgpr_private_segment_wavefront_offset 0
		.amdhsa_system_sgpr_workgroup_id_x 1
		.amdhsa_system_sgpr_workgroup_id_y 0
		.amdhsa_system_sgpr_workgroup_id_z 0
		.amdhsa_system_sgpr_workgroup_info 0
		.amdhsa_system_vgpr_workitem_id 0
		.amdhsa_next_free_vgpr 86
		.amdhsa_next_free_sgpr 19
		.amdhsa_reserve_vcc 1
		.amdhsa_reserve_flat_scratch 0
		.amdhsa_float_round_mode_32 0
		.amdhsa_float_round_mode_16_64 0
		.amdhsa_float_denorm_mode_32 3
		.amdhsa_float_denorm_mode_16_64 3
		.amdhsa_dx10_clamp 1
		.amdhsa_ieee_mode 1
		.amdhsa_fp16_overflow 0
		.amdhsa_exception_fp_ieee_invalid_op 0
		.amdhsa_exception_fp_denorm_src 0
		.amdhsa_exception_fp_ieee_div_zero 0
		.amdhsa_exception_fp_ieee_overflow 0
		.amdhsa_exception_fp_ieee_underflow 0
		.amdhsa_exception_fp_ieee_inexact 0
		.amdhsa_exception_int_div_zero 0
	.end_amdhsa_kernel
	.text
.Lfunc_end0:
	.size	bluestein_single_fwd_len120_dim1_sp_op_CI_CI, .Lfunc_end0-bluestein_single_fwd_len120_dim1_sp_op_CI_CI
                                        ; -- End function
	.section	.AMDGPU.csdata,"",@progbits
; Kernel info:
; codeLenInByte = 7820
; NumSgprs: 23
; NumVgprs: 86
; ScratchSize: 0
; MemoryBound: 0
; FloatMode: 240
; IeeeMode: 1
; LDSByteSize: 4800 bytes/workgroup (compile time only)
; SGPRBlocks: 2
; VGPRBlocks: 21
; NumSGPRsForWavesPerEU: 23
; NumVGPRsForWavesPerEU: 86
; Occupancy: 2
; WaveLimiterHint : 1
; COMPUTE_PGM_RSRC2:SCRATCH_EN: 0
; COMPUTE_PGM_RSRC2:USER_SGPR: 6
; COMPUTE_PGM_RSRC2:TRAP_HANDLER: 0
; COMPUTE_PGM_RSRC2:TGID_X_EN: 1
; COMPUTE_PGM_RSRC2:TGID_Y_EN: 0
; COMPUTE_PGM_RSRC2:TGID_Z_EN: 0
; COMPUTE_PGM_RSRC2:TIDIG_COMP_CNT: 0
	.type	__hip_cuid_b0557ae2ef5a04ab,@object ; @__hip_cuid_b0557ae2ef5a04ab
	.section	.bss,"aw",@nobits
	.globl	__hip_cuid_b0557ae2ef5a04ab
__hip_cuid_b0557ae2ef5a04ab:
	.byte	0                               ; 0x0
	.size	__hip_cuid_b0557ae2ef5a04ab, 1

	.ident	"AMD clang version 19.0.0git (https://github.com/RadeonOpenCompute/llvm-project roc-6.4.0 25133 c7fe45cf4b819c5991fe208aaa96edf142730f1d)"
	.section	".note.GNU-stack","",@progbits
	.addrsig
	.addrsig_sym __hip_cuid_b0557ae2ef5a04ab
	.amdgpu_metadata
---
amdhsa.kernels:
  - .args:
      - .actual_access:  read_only
        .address_space:  global
        .offset:         0
        .size:           8
        .value_kind:     global_buffer
      - .actual_access:  read_only
        .address_space:  global
        .offset:         8
        .size:           8
        .value_kind:     global_buffer
      - .actual_access:  read_only
        .address_space:  global
        .offset:         16
        .size:           8
        .value_kind:     global_buffer
      - .actual_access:  read_only
        .address_space:  global
        .offset:         24
        .size:           8
        .value_kind:     global_buffer
      - .actual_access:  read_only
        .address_space:  global
        .offset:         32
        .size:           8
        .value_kind:     global_buffer
      - .offset:         40
        .size:           8
        .value_kind:     by_value
      - .address_space:  global
        .offset:         48
        .size:           8
        .value_kind:     global_buffer
      - .address_space:  global
        .offset:         56
        .size:           8
        .value_kind:     global_buffer
      - .address_space:  global
        .offset:         64
        .size:           8
        .value_kind:     global_buffer
      - .address_space:  global
        .offset:         72
        .size:           8
        .value_kind:     global_buffer
      - .offset:         80
        .size:           4
        .value_kind:     by_value
      - .address_space:  global
        .offset:         88
        .size:           8
        .value_kind:     global_buffer
      - .address_space:  global
        .offset:         96
        .size:           8
        .value_kind:     global_buffer
    .group_segment_fixed_size: 4800
    .kernarg_segment_align: 8
    .kernarg_segment_size: 104
    .language:       OpenCL C
    .language_version:
      - 2
      - 0
    .max_flat_workgroup_size: 60
    .name:           bluestein_single_fwd_len120_dim1_sp_op_CI_CI
    .private_segment_fixed_size: 0
    .sgpr_count:     23
    .sgpr_spill_count: 0
    .symbol:         bluestein_single_fwd_len120_dim1_sp_op_CI_CI.kd
    .uniform_work_group_size: 1
    .uses_dynamic_stack: false
    .vgpr_count:     86
    .vgpr_spill_count: 0
    .wavefront_size: 64
amdhsa.target:   amdgcn-amd-amdhsa--gfx906
amdhsa.version:
  - 1
  - 2
...

	.end_amdgpu_metadata
